;; amdgpu-corpus repo=ROCm/rocFFT kind=compiled arch=gfx906 opt=O3
	.text
	.amdgcn_target "amdgcn-amd-amdhsa--gfx906"
	.amdhsa_code_object_version 6
	.protected	fft_rtc_fwd_len1440_factors_10_16_3_3_wgs_90_tpt_90_halfLds_sp_op_CI_CI_unitstride_sbrr_R2C_dirReg ; -- Begin function fft_rtc_fwd_len1440_factors_10_16_3_3_wgs_90_tpt_90_halfLds_sp_op_CI_CI_unitstride_sbrr_R2C_dirReg
	.globl	fft_rtc_fwd_len1440_factors_10_16_3_3_wgs_90_tpt_90_halfLds_sp_op_CI_CI_unitstride_sbrr_R2C_dirReg
	.p2align	8
	.type	fft_rtc_fwd_len1440_factors_10_16_3_3_wgs_90_tpt_90_halfLds_sp_op_CI_CI_unitstride_sbrr_R2C_dirReg,@function
fft_rtc_fwd_len1440_factors_10_16_3_3_wgs_90_tpt_90_halfLds_sp_op_CI_CI_unitstride_sbrr_R2C_dirReg: ; @fft_rtc_fwd_len1440_factors_10_16_3_3_wgs_90_tpt_90_halfLds_sp_op_CI_CI_unitstride_sbrr_R2C_dirReg
; %bb.0:
	s_load_dwordx4 s[8:11], s[4:5], 0x58
	s_load_dwordx4 s[12:15], s[4:5], 0x0
	;; [unrolled: 1-line block ×3, first 2 shown]
	v_mul_u32_u24_e32 v1, 0x2d9, v0
	v_add_u32_sdwa v5, s6, v1 dst_sel:DWORD dst_unused:UNUSED_PAD src0_sel:DWORD src1_sel:WORD_1
	v_mov_b32_e32 v3, 0
	s_waitcnt lgkmcnt(0)
	v_cmp_lt_u64_e64 s[0:1], s[14:15], 2
	v_mov_b32_e32 v1, 0
	v_mov_b32_e32 v6, v3
	s_and_b64 vcc, exec, s[0:1]
	v_mov_b32_e32 v2, 0
	s_cbranch_vccnz .LBB0_8
; %bb.1:
	s_load_dwordx2 s[0:1], s[4:5], 0x10
	s_add_u32 s2, s18, 8
	s_addc_u32 s3, s19, 0
	s_add_u32 s6, s16, 8
	v_mov_b32_e32 v1, 0
	s_addc_u32 s7, s17, 0
	v_mov_b32_e32 v2, 0
	s_waitcnt lgkmcnt(0)
	s_add_u32 s20, s0, 8
	v_mov_b32_e32 v41, v2
	s_addc_u32 s21, s1, 0
	s_mov_b64 s[22:23], 1
	v_mov_b32_e32 v40, v1
.LBB0_2:                                ; =>This Inner Loop Header: Depth=1
	s_load_dwordx2 s[24:25], s[20:21], 0x0
                                        ; implicit-def: $vgpr44_vgpr45
	s_waitcnt lgkmcnt(0)
	v_or_b32_e32 v4, s25, v6
	v_cmp_ne_u64_e32 vcc, 0, v[3:4]
	s_and_saveexec_b64 s[0:1], vcc
	s_xor_b64 s[26:27], exec, s[0:1]
	s_cbranch_execz .LBB0_4
; %bb.3:                                ;   in Loop: Header=BB0_2 Depth=1
	v_cvt_f32_u32_e32 v4, s24
	v_cvt_f32_u32_e32 v7, s25
	s_sub_u32 s0, 0, s24
	s_subb_u32 s1, 0, s25
	v_mac_f32_e32 v4, 0x4f800000, v7
	v_rcp_f32_e32 v4, v4
	v_mul_f32_e32 v4, 0x5f7ffffc, v4
	v_mul_f32_e32 v7, 0x2f800000, v4
	v_trunc_f32_e32 v7, v7
	v_mac_f32_e32 v4, 0xcf800000, v7
	v_cvt_u32_f32_e32 v7, v7
	v_cvt_u32_f32_e32 v4, v4
	v_mul_lo_u32 v8, s0, v7
	v_mul_hi_u32 v9, s0, v4
	v_mul_lo_u32 v11, s1, v4
	v_mul_lo_u32 v10, s0, v4
	v_add_u32_e32 v8, v9, v8
	v_add_u32_e32 v8, v8, v11
	v_mul_hi_u32 v9, v4, v10
	v_mul_lo_u32 v11, v4, v8
	v_mul_hi_u32 v13, v4, v8
	v_mul_hi_u32 v12, v7, v10
	v_mul_lo_u32 v10, v7, v10
	v_mul_hi_u32 v14, v7, v8
	v_add_co_u32_e32 v9, vcc, v9, v11
	v_addc_co_u32_e32 v11, vcc, 0, v13, vcc
	v_mul_lo_u32 v8, v7, v8
	v_add_co_u32_e32 v9, vcc, v9, v10
	v_addc_co_u32_e32 v9, vcc, v11, v12, vcc
	v_addc_co_u32_e32 v10, vcc, 0, v14, vcc
	v_add_co_u32_e32 v8, vcc, v9, v8
	v_addc_co_u32_e32 v9, vcc, 0, v10, vcc
	v_add_co_u32_e32 v4, vcc, v4, v8
	v_addc_co_u32_e32 v7, vcc, v7, v9, vcc
	v_mul_lo_u32 v8, s0, v7
	v_mul_hi_u32 v9, s0, v4
	v_mul_lo_u32 v10, s1, v4
	v_mul_lo_u32 v11, s0, v4
	v_add_u32_e32 v8, v9, v8
	v_add_u32_e32 v8, v8, v10
	v_mul_lo_u32 v12, v4, v8
	v_mul_hi_u32 v13, v4, v11
	v_mul_hi_u32 v14, v4, v8
	v_mul_hi_u32 v10, v7, v11
	v_mul_lo_u32 v11, v7, v11
	v_mul_hi_u32 v9, v7, v8
	v_add_co_u32_e32 v12, vcc, v13, v12
	v_addc_co_u32_e32 v13, vcc, 0, v14, vcc
	v_mul_lo_u32 v8, v7, v8
	v_add_co_u32_e32 v11, vcc, v12, v11
	v_addc_co_u32_e32 v10, vcc, v13, v10, vcc
	v_addc_co_u32_e32 v9, vcc, 0, v9, vcc
	v_add_co_u32_e32 v8, vcc, v10, v8
	v_addc_co_u32_e32 v9, vcc, 0, v9, vcc
	v_add_co_u32_e32 v4, vcc, v4, v8
	v_addc_co_u32_e32 v9, vcc, v7, v9, vcc
	v_mad_u64_u32 v[7:8], s[0:1], v5, v9, 0
	v_mul_hi_u32 v10, v5, v4
	v_add_co_u32_e32 v11, vcc, v10, v7
	v_addc_co_u32_e32 v12, vcc, 0, v8, vcc
	v_mad_u64_u32 v[7:8], s[0:1], v6, v4, 0
	v_mad_u64_u32 v[9:10], s[0:1], v6, v9, 0
	v_add_co_u32_e32 v4, vcc, v11, v7
	v_addc_co_u32_e32 v4, vcc, v12, v8, vcc
	v_addc_co_u32_e32 v7, vcc, 0, v10, vcc
	v_add_co_u32_e32 v4, vcc, v4, v9
	v_addc_co_u32_e32 v9, vcc, 0, v7, vcc
	v_mul_lo_u32 v10, s25, v4
	v_mul_lo_u32 v11, s24, v9
	v_mad_u64_u32 v[7:8], s[0:1], s24, v4, 0
	v_add3_u32 v8, v8, v11, v10
	v_sub_u32_e32 v10, v6, v8
	v_mov_b32_e32 v11, s25
	v_sub_co_u32_e32 v7, vcc, v5, v7
	v_subb_co_u32_e64 v10, s[0:1], v10, v11, vcc
	v_subrev_co_u32_e64 v11, s[0:1], s24, v7
	v_subbrev_co_u32_e64 v10, s[0:1], 0, v10, s[0:1]
	v_cmp_le_u32_e64 s[0:1], s25, v10
	v_cndmask_b32_e64 v12, 0, -1, s[0:1]
	v_cmp_le_u32_e64 s[0:1], s24, v11
	v_cndmask_b32_e64 v11, 0, -1, s[0:1]
	v_cmp_eq_u32_e64 s[0:1], s25, v10
	v_cndmask_b32_e64 v10, v12, v11, s[0:1]
	v_add_co_u32_e64 v11, s[0:1], 2, v4
	v_addc_co_u32_e64 v12, s[0:1], 0, v9, s[0:1]
	v_add_co_u32_e64 v13, s[0:1], 1, v4
	v_addc_co_u32_e64 v14, s[0:1], 0, v9, s[0:1]
	v_subb_co_u32_e32 v8, vcc, v6, v8, vcc
	v_cmp_ne_u32_e64 s[0:1], 0, v10
	v_cmp_le_u32_e32 vcc, s25, v8
	v_cndmask_b32_e64 v10, v14, v12, s[0:1]
	v_cndmask_b32_e64 v12, 0, -1, vcc
	v_cmp_le_u32_e32 vcc, s24, v7
	v_cndmask_b32_e64 v7, 0, -1, vcc
	v_cmp_eq_u32_e32 vcc, s25, v8
	v_cndmask_b32_e32 v7, v12, v7, vcc
	v_cmp_ne_u32_e32 vcc, 0, v7
	v_cndmask_b32_e64 v7, v13, v11, s[0:1]
	v_cndmask_b32_e32 v45, v9, v10, vcc
	v_cndmask_b32_e32 v44, v4, v7, vcc
.LBB0_4:                                ;   in Loop: Header=BB0_2 Depth=1
	s_andn2_saveexec_b64 s[0:1], s[26:27]
	s_cbranch_execz .LBB0_6
; %bb.5:                                ;   in Loop: Header=BB0_2 Depth=1
	v_cvt_f32_u32_e32 v4, s24
	s_sub_i32 s26, 0, s24
	v_mov_b32_e32 v45, v3
	v_rcp_iflag_f32_e32 v4, v4
	v_mul_f32_e32 v4, 0x4f7ffffe, v4
	v_cvt_u32_f32_e32 v4, v4
	v_mul_lo_u32 v7, s26, v4
	v_mul_hi_u32 v7, v4, v7
	v_add_u32_e32 v4, v4, v7
	v_mul_hi_u32 v4, v5, v4
	v_mul_lo_u32 v7, v4, s24
	v_add_u32_e32 v8, 1, v4
	v_sub_u32_e32 v7, v5, v7
	v_subrev_u32_e32 v9, s24, v7
	v_cmp_le_u32_e32 vcc, s24, v7
	v_cndmask_b32_e32 v7, v7, v9, vcc
	v_cndmask_b32_e32 v4, v4, v8, vcc
	v_add_u32_e32 v8, 1, v4
	v_cmp_le_u32_e32 vcc, s24, v7
	v_cndmask_b32_e32 v44, v4, v8, vcc
.LBB0_6:                                ;   in Loop: Header=BB0_2 Depth=1
	s_or_b64 exec, exec, s[0:1]
	v_mul_lo_u32 v4, v45, s24
	v_mul_lo_u32 v9, v44, s25
	v_mad_u64_u32 v[7:8], s[0:1], v44, s24, 0
	s_load_dwordx2 s[0:1], s[6:7], 0x0
	s_load_dwordx2 s[24:25], s[2:3], 0x0
	v_add3_u32 v4, v8, v9, v4
	v_sub_co_u32_e32 v5, vcc, v5, v7
	v_subb_co_u32_e32 v4, vcc, v6, v4, vcc
	s_waitcnt lgkmcnt(0)
	v_mul_lo_u32 v6, s0, v4
	v_mul_lo_u32 v7, s1, v5
	v_mad_u64_u32 v[1:2], s[0:1], s0, v5, v[1:2]
	v_mul_lo_u32 v4, s24, v4
	v_mul_lo_u32 v8, s25, v5
	v_mad_u64_u32 v[40:41], s[0:1], s24, v5, v[40:41]
	s_add_u32 s22, s22, 1
	s_addc_u32 s23, s23, 0
	s_add_u32 s2, s2, 8
	v_add3_u32 v41, v8, v41, v4
	s_addc_u32 s3, s3, 0
	v_mov_b32_e32 v4, s14
	s_add_u32 s6, s6, 8
	v_mov_b32_e32 v5, s15
	s_addc_u32 s7, s7, 0
	v_cmp_ge_u64_e32 vcc, s[22:23], v[4:5]
	s_add_u32 s20, s20, 8
	v_add3_u32 v2, v7, v2, v6
	s_addc_u32 s21, s21, 0
	s_cbranch_vccnz .LBB0_9
; %bb.7:                                ;   in Loop: Header=BB0_2 Depth=1
	v_mov_b32_e32 v5, v44
	v_mov_b32_e32 v6, v45
	s_branch .LBB0_2
.LBB0_8:
	v_mov_b32_e32 v41, v2
	v_mov_b32_e32 v45, v6
	;; [unrolled: 1-line block ×4, first 2 shown]
.LBB0_9:
	s_load_dwordx2 s[4:5], s[4:5], 0x28
	s_lshl_b64 s[6:7], s[14:15], 3
	s_add_u32 s2, s18, s6
	s_addc_u32 s3, s19, s7
                                        ; implicit-def: $vgpr42
                                        ; implicit-def: $vgpr46
	s_waitcnt lgkmcnt(0)
	v_cmp_gt_u64_e64 s[0:1], s[4:5], v[44:45]
	v_cmp_le_u64_e32 vcc, s[4:5], v[44:45]
	s_and_saveexec_b64 s[4:5], vcc
	s_xor_b64 s[4:5], exec, s[4:5]
; %bb.10:
	s_mov_b32 s14, 0x2d82d83
	v_mul_hi_u32 v1, v0, s14
	v_mul_u32_u24_e32 v1, 0x5a, v1
	v_sub_u32_e32 v42, v0, v1
	v_add_u32_e32 v46, 0x5a, v42
                                        ; implicit-def: $vgpr0
                                        ; implicit-def: $vgpr1_vgpr2
; %bb.11:
	s_andn2_saveexec_b64 s[4:5], s[4:5]
	s_cbranch_execz .LBB0_13
; %bb.12:
	s_add_u32 s6, s16, s6
	s_addc_u32 s7, s17, s7
	s_load_dwordx2 s[6:7], s[6:7], 0x0
	s_mov_b32 s14, 0x2d82d83
	v_mul_hi_u32 v5, v0, s14
	s_waitcnt lgkmcnt(0)
	v_mul_lo_u32 v6, s7, v44
	v_mul_lo_u32 v7, s6, v45
	v_mad_u64_u32 v[3:4], s[6:7], s6, v44, 0
	v_mul_u32_u24_e32 v5, 0x5a, v5
	v_sub_u32_e32 v42, v0, v5
	v_add3_u32 v4, v4, v7, v6
	v_lshlrev_b64 v[3:4], 3, v[3:4]
	v_mov_b32_e32 v0, s9
	v_add_co_u32_e32 v3, vcc, s8, v3
	v_addc_co_u32_e32 v4, vcc, v0, v4, vcc
	v_lshlrev_b64 v[0:1], 3, v[1:2]
	v_lshlrev_b32_e32 v34, 3, v42
	v_add_co_u32_e32 v0, vcc, v3, v0
	v_addc_co_u32_e32 v1, vcc, v4, v1, vcc
	v_add_co_u32_e32 v0, vcc, v0, v34
	v_addc_co_u32_e32 v1, vcc, 0, v1, vcc
	s_movk_i32 s6, 0x1000
	v_add_co_u32_e32 v4, vcc, s6, v0
	v_addc_co_u32_e32 v5, vcc, 0, v1, vcc
	global_load_dwordx2 v[2:3], v[0:1], off offset:2160
	global_load_dwordx2 v[6:7], v[0:1], off offset:2880
	;; [unrolled: 1-line block ×5, first 2 shown]
	global_load_dwordx2 v[14:15], v[0:1], off
	global_load_dwordx2 v[16:17], v[0:1], off offset:1440
	global_load_dwordx2 v[18:19], v[0:1], off offset:720
	v_add_co_u32_e32 v0, vcc, 0x2000, v0
	v_addc_co_u32_e32 v1, vcc, 0, v1, vcc
	global_load_dwordx2 v[20:21], v[4:5], off offset:1664
	global_load_dwordx2 v[22:23], v[4:5], off offset:2384
	;; [unrolled: 1-line block ×4, first 2 shown]
	s_nop 0
	global_load_dwordx2 v[4:5], v[0:1], off offset:448
	global_load_dwordx2 v[28:29], v[0:1], off offset:1168
	;; [unrolled: 1-line block ×4, first 2 shown]
	v_add_u32_e32 v0, 0, v34
	v_add_u32_e32 v46, 0x5a, v42
	;; [unrolled: 1-line block ×9, first 2 shown]
	s_waitcnt vmcnt(9)
	ds_write2_b64 v1, v[16:17], v[2:3] offset0:52 offset1:142
	ds_write2_b64 v34, v[6:7], v[8:9] offset0:104 offset1:194
	s_waitcnt vmcnt(8)
	ds_write2_b64 v0, v[14:15], v[18:19] offset1:90
	ds_write2_b64 v35, v[10:11], v[12:13] offset0:28 offset1:118
	s_waitcnt vmcnt(6)
	ds_write2_b64 v36, v[20:21], v[22:23] offset0:80 offset1:170
	s_waitcnt vmcnt(4)
	;; [unrolled: 2-line block ×4, first 2 shown]
	ds_write2_b64 v39, v[30:31], v[32:33] offset0:108 offset1:198
.LBB0_13:
	s_or_b64 exec, exec, s[4:5]
	v_lshl_add_u32 v48, v42, 3, 0
	v_add_u32_e32 v0, 0x800, v48
	v_add_u32_e32 v43, 0x1000, v48
	;; [unrolled: 1-line block ×4, first 2 shown]
	s_load_dwordx2 s[4:5], s[2:3], 0x0
	s_waitcnt lgkmcnt(0)
	s_barrier
	ds_read2_b64 v[0:3], v0 offset0:32 offset1:122
	ds_read2_b64 v[4:7], v43 offset0:64 offset1:154
	ds_read2_b64 v[8:11], v47 offset0:96 offset1:186
	ds_read2_b64 v[12:15], v49 offset0:128 offset1:218
	v_add_u32_e32 v50, 0xc00, v48
	v_add_u32_e32 v24, 0x1c00, v48
	s_waitcnt lgkmcnt(2)
	v_sub_f32_e32 v16, v0, v4
	v_add_u32_e32 v28, 0x2800, v48
	s_waitcnt lgkmcnt(0)
	v_sub_f32_e32 v17, v12, v8
	v_add_u32_e32 v52, 0x1400, v48
	v_add_f32_e32 v57, v16, v17
	ds_read2_b64 v[16:19], v50 offset0:48 offset1:138
	ds_read2_b64 v[20:23], v52 offset0:80 offset1:170
	;; [unrolled: 1-line block ×4, first 2 shown]
	v_sub_f32_e32 v32, v1, v5
	v_sub_f32_e32 v33, v13, v9
	v_add_f32_e32 v58, v32, v33
	s_waitcnt lgkmcnt(2)
	v_sub_f32_e32 v32, v16, v20
	s_waitcnt lgkmcnt(0)
	v_sub_f32_e32 v33, v28, v24
	v_add_f32_e32 v59, v32, v33
	ds_read2_b64 v[32:35], v48 offset0:144 offset1:234
	v_sub_f32_e32 v36, v17, v21
	v_sub_f32_e32 v37, v29, v25
	v_add_f32_e32 v60, v36, v37
	v_add_f32_e32 v36, v20, v24
	s_waitcnt lgkmcnt(0)
	v_fma_f32 v61, -0.5, v36, v32
	v_add_f32_e32 v36, v21, v25
	v_fma_f32 v64, -0.5, v36, v33
	ds_read2_b64 v[36:39], v48 offset1:90
	v_sub_f32_e32 v62, v17, v29
	v_mov_b32_e32 v51, v61
	v_fmac_f32_e32 v51, 0x3f737871, v62
	v_sub_f32_e32 v63, v21, v25
	v_fmac_f32_e32 v51, 0x3f167918, v63
	v_fmac_f32_e32 v51, 0x3e9e377a, v59
	v_mul_f32_e32 v67, 0x3f4f1bbd, v51
	v_mul_f32_e32 v68, 0xbf167918, v51
	s_waitcnt lgkmcnt(0)
	v_add_f32_e32 v51, v36, v0
	v_add_f32_e32 v51, v51, v4
	;; [unrolled: 1-line block ×5, first 2 shown]
	v_sub_f32_e32 v76, v0, v12
	v_sub_f32_e32 v78, v4, v8
	;; [unrolled: 1-line block ×4, first 2 shown]
	v_add_f32_e32 v0, v0, v12
	v_add_f32_e32 v4, v4, v8
	v_fma_f32 v8, -0.5, v0, v36
	v_fma_f32 v70, -0.5, v51, v36
	v_sub_f32_e32 v73, v5, v9
	v_add_f32_e32 v51, v37, v1
	v_mov_b32_e32 v12, v8
	v_sub_f32_e32 v71, v1, v13
	v_add_f32_e32 v51, v51, v5
	v_fmac_f32_e32 v12, 0xbf737871, v73
	v_fmac_f32_e32 v8, 0x3f737871, v73
	v_add_f32_e32 v51, v51, v9
	v_fmac_f32_e32 v12, 0x3f167918, v71
	v_fmac_f32_e32 v8, 0xbf167918, v71
	v_sub_f32_e32 v0, v5, v1
	v_add_f32_e32 v1, v1, v13
	v_add_f32_e32 v74, v51, v13
	;; [unrolled: 1-line block ×3, first 2 shown]
	v_fmac_f32_e32 v12, 0x3e9e377a, v4
	v_fmac_f32_e32 v8, 0x3e9e377a, v4
	v_sub_f32_e32 v4, v9, v13
	v_fma_f32 v9, -0.5, v1, v37
	v_mov_b32_e32 v13, v9
	v_fmac_f32_e32 v13, 0x3f737871, v78
	v_fmac_f32_e32 v9, 0xbf737871, v78
	v_add_f32_e32 v0, v0, v4
	v_fmac_f32_e32 v13, 0xbf167918, v76
	v_fmac_f32_e32 v9, 0x3f167918, v76
	;; [unrolled: 1-line block ×4, first 2 shown]
	v_sub_f32_e32 v0, v20, v16
	v_sub_f32_e32 v1, v24, v28
	v_add_f32_e32 v0, v0, v1
	v_add_f32_e32 v1, v16, v28
	v_fma_f32 v1, -0.5, v1, v32
	v_mov_b32_e32 v4, v1
	v_fmac_f32_e32 v4, 0xbf737871, v63
	v_fmac_f32_e32 v1, 0x3f737871, v63
	;; [unrolled: 1-line block ×6, first 2 shown]
	v_sub_f32_e32 v0, v21, v17
	v_sub_f32_e32 v5, v25, v29
	v_add_f32_e32 v0, v0, v5
	v_add_f32_e32 v5, v17, v29
	v_fma_f32 v5, -0.5, v5, v33
	v_sub_f32_e32 v65, v16, v28
	v_sub_f32_e32 v66, v20, v24
	v_fma_f32 v75, -0.5, v51, v37
	v_add_f32_e32 v51, v32, v16
	v_mov_b32_e32 v16, v5
	v_add_f32_e32 v51, v51, v20
	v_fmac_f32_e32 v16, 0x3f737871, v66
	v_fmac_f32_e32 v5, 0xbf737871, v66
	v_add_f32_e32 v51, v51, v24
	v_fmac_f32_e32 v16, 0xbf167918, v65
	v_fmac_f32_e32 v5, 0x3f167918, v65
	v_add_f32_e32 v79, v51, v28
	v_add_f32_e32 v51, v33, v17
	v_fmac_f32_e32 v16, 0x3e9e377a, v0
	v_fmac_f32_e32 v5, 0x3e9e377a, v0
	v_mul_f32_e32 v20, 0xbf737871, v4
	s_mov_b32 s6, 0x3f737871
	v_mul_f32_e32 v0, 0x3e9e377a, v1
	v_add_f32_e32 v51, v51, v21
	v_mul_f32_e32 v17, 0x3f737871, v16
	v_fmac_f32_e32 v20, 0x3e9e377a, v16
	s_mov_b32 s7, 0xbf737871
	v_fma_f32 v16, v5, s6, -v0
	v_mul_f32_e32 v0, 0x3e9e377a, v5
	v_fmac_f32_e32 v61, 0xbf737871, v62
	v_mov_b32_e32 v53, v64
	v_add_f32_e32 v51, v51, v25
	s_movk_i32 s2, 0x48
	v_fmac_f32_e32 v17, 0x3e9e377a, v4
	v_fma_f32 v21, v1, s7, -v0
	v_fmac_f32_e32 v61, 0xbf167918, v63
	v_fmac_f32_e32 v64, 0x3f737871, v65
	v_add_f32_e32 v80, v51, v29
	v_mad_u32_u24 v51, v42, s2, v48
	v_add_f32_e32 v0, v12, v17
	v_add_f32_e32 v1, v13, v20
	;; [unrolled: 1-line block ×4, first 2 shown]
	v_fmac_f32_e32 v61, 0x3e9e377a, v59
	v_fmac_f32_e32 v64, 0x3f167918, v66
	v_fmac_f32_e32 v53, 0xbf737871, v65
	v_mov_b32_e32 v72, v70
	v_mov_b32_e32 v77, v75
	s_barrier
	ds_write2_b64 v51, v[0:1], v[4:5] offset0:2 offset1:3
	v_fmac_f32_e32 v70, 0xbf737871, v71
	v_fmac_f32_e32 v75, 0x3f737871, v76
	v_fmac_f32_e32 v64, 0x3e9e377a, v60
	s_mov_b32 s8, 0x3f167918
	v_mul_f32_e32 v4, 0x3f4f1bbd, v61
	v_fmac_f32_e32 v53, 0xbf167918, v66
	v_fmac_f32_e32 v72, 0x3f737871, v71
	;; [unrolled: 1-line block ×5, first 2 shown]
	s_mov_b32 s9, 0xbf167918
	v_fma_f32 v24, v64, s8, -v4
	v_mul_f32_e32 v4, 0x3f4f1bbd, v64
	v_fmac_f32_e32 v53, 0x3e9e377a, v60
	v_fmac_f32_e32 v72, 0x3f167918, v73
	;; [unrolled: 1-line block ×5, first 2 shown]
	v_fma_f32 v25, v61, s9, -v4
	v_fmac_f32_e32 v67, 0x3f167918, v53
	v_fmac_f32_e32 v68, 0x3f4f1bbd, v53
	v_fmac_f32_e32 v72, 0x3e9e377a, v57
	v_fmac_f32_e32 v77, 0x3e9e377a, v58
	v_sub_f32_e32 v0, v69, v79
	v_sub_f32_e32 v1, v74, v80
	v_add_f32_e32 v4, v70, v24
	v_add_f32_e32 v5, v75, v25
	ds_write2_b64 v51, v[4:5], v[0:1] offset0:4 offset1:5
	v_sub_f32_e32 v0, v72, v67
	v_sub_f32_e32 v1, v77, v68
	;; [unrolled: 1-line block ×4, first 2 shown]
	ds_write2_b64 v51, v[0:1], v[4:5] offset0:6 offset1:7
	v_sub_f32_e32 v0, v8, v16
	v_sub_f32_e32 v1, v9, v21
	;; [unrolled: 1-line block ×4, first 2 shown]
	ds_write2_b64 v51, v[0:1], v[4:5] offset0:8 offset1:9
	v_sub_f32_e32 v0, v2, v6
	v_sub_f32_e32 v1, v14, v10
	v_add_f32_e32 v16, v0, v1
	v_sub_f32_e32 v0, v6, v2
	v_sub_f32_e32 v1, v10, v14
	v_add_f32_e32 v17, v0, v1
	;; [unrolled: 3-line block ×8, first 2 shown]
	v_add_f32_e32 v0, v22, v26
	v_fma_f32 v59, -0.5, v0, v34
	v_add_f32_e32 v0, v23, v27
	v_sub_f32_e32 v57, v19, v31
	v_mov_b32_e32 v1, v59
	v_fma_f32 v37, -0.5, v0, v35
	v_fmac_f32_e32 v1, 0x3f737871, v57
	v_sub_f32_e32 v61, v23, v27
	v_sub_f32_e32 v58, v18, v30
	v_mov_b32_e32 v4, v37
	v_fmac_f32_e32 v1, 0x3f167918, v61
	v_fmac_f32_e32 v4, 0xbf737871, v58
	v_sub_f32_e32 v62, v22, v26
	v_fmac_f32_e32 v1, 0x3e9e377a, v21
	v_fmac_f32_e32 v4, 0xbf167918, v62
	;; [unrolled: 1-line block ×3, first 2 shown]
	v_mul_f32_e32 v0, 0x3f4f1bbd, v1
	v_mul_f32_e32 v1, 0xbf167918, v1
	v_add_f32_e32 v53, v69, v79
	v_add_f32_e32 v54, v74, v80
	;; [unrolled: 1-line block ×4, first 2 shown]
	v_fmac_f32_e32 v0, 0x3f167918, v4
	v_fmac_f32_e32 v1, 0x3f4f1bbd, v4
	v_add_f32_e32 v4, v18, v30
	ds_write2_b64 v51, v[53:54], v[55:56] offset1:1
	v_fma_f32 v56, -0.5, v4, v34
	v_add_f32_e32 v4, v19, v31
	v_fma_f32 v60, -0.5, v4, v35
	v_mov_b32_e32 v5, v56
	v_mov_b32_e32 v9, v60
	v_fmac_f32_e32 v5, 0xbf737871, v61
	v_fmac_f32_e32 v9, 0x3f737871, v62
	v_fmac_f32_e32 v5, 0x3f167918, v57
	v_fmac_f32_e32 v9, 0xbf167918, v58
	v_fmac_f32_e32 v5, 0x3e9e377a, v32
	v_fmac_f32_e32 v9, 0x3e9e377a, v13
	v_mul_f32_e32 v4, 0x3f737871, v9
	v_mul_f32_e32 v8, 0xbf737871, v5
	v_fmac_f32_e32 v4, 0x3e9e377a, v5
	v_fmac_f32_e32 v8, 0x3e9e377a, v9
	v_add_f32_e32 v5, v6, v10
	v_add_f32_e32 v9, v2, v14
	;; [unrolled: 1-line block ×4, first 2 shown]
	v_fma_f32 v53, -0.5, v5, v38
	v_fma_f32 v55, -0.5, v9, v38
	;; [unrolled: 1-line block ×4, first 2 shown]
	v_sub_f32_e32 v64, v3, v15
	v_mov_b32_e32 v5, v53
	v_sub_f32_e32 v65, v7, v11
	v_mov_b32_e32 v9, v55
	;; [unrolled: 2-line block ×4, first 2 shown]
	v_fmac_f32_e32 v5, 0x3f737871, v64
	v_fmac_f32_e32 v9, 0xbf737871, v65
	;; [unrolled: 1-line block ×12, first 2 shown]
	v_sub_f32_e32 v24, v5, v0
	v_sub_f32_e32 v25, v20, v1
	;; [unrolled: 1-line block ×4, first 2 shown]
	v_cmp_gt_u32_e32 vcc, 54, v42
	s_and_saveexec_b64 s[2:3], vcc
	s_cbranch_execz .LBB0_15
; %bb.14:
	v_mul_f32_e32 v70, 0x3f737871, v66
	v_add_f32_e32 v68, v68, v70
	v_mul_f32_e32 v70, 0x3f167918, v67
	v_add_f32_e32 v68, v70, v68
	v_mul_f32_e32 v71, 0x3e9e377a, v16
	v_mul_f32_e32 v16, 0x3e9e377a, v33
	v_mul_f32_e32 v33, 0x3f737871, v67
	v_add_f32_e32 v67, v16, v68
	v_mul_f32_e32 v16, 0x3f737871, v57
	v_sub_f32_e32 v16, v59, v16
	v_mul_f32_e32 v59, 0x3f167918, v61
	v_mul_f32_e32 v21, 0x3e9e377a, v21
	v_sub_f32_e32 v16, v16, v59
	v_mul_f32_e32 v59, 0x3f737871, v58
	v_add_f32_e32 v21, v21, v16
	v_mul_f32_e32 v16, 0x3f167918, v62
	v_add_f32_e32 v37, v37, v59
	;; [unrolled: 2-line block ×3, first 2 shown]
	v_add_f32_e32 v3, v39, v3
	v_mul_f32_e32 v69, 0x3f737871, v64
	v_mul_f32_e32 v66, 0x3f167918, v66
	v_add_f32_e32 v37, v12, v16
	v_sub_f32_e32 v16, v63, v33
	v_add_f32_e32 v3, v3, v7
	v_mul_f32_e32 v70, 0x3f167918, v65
	v_mul_f32_e32 v36, 0x3e9e377a, v36
	;; [unrolled: 1-line block ×3, first 2 shown]
	v_add_f32_e32 v16, v66, v16
	v_add_f32_e32 v3, v3, v11
	v_sub_f32_e32 v7, v53, v69
	v_add_f32_e32 v2, v38, v2
	v_mul_f32_e32 v57, 0x3f167918, v57
	v_add_f32_e32 v33, v36, v16
	v_add_f32_e32 v16, v61, v56
	;; [unrolled: 1-line block ×4, first 2 shown]
	v_sub_f32_e32 v7, v7, v70
	v_add_f32_e32 v2, v2, v6
	v_mul_f32_e32 v65, 0x3f737871, v65
	v_mul_f32_e32 v32, 0x3e9e377a, v32
	;; [unrolled: 1-line block ×4, first 2 shown]
	v_sub_f32_e32 v16, v16, v57
	v_add_f32_e32 v3, v3, v23
	v_add_f32_e32 v23, v71, v7
	v_mul_f32_e32 v7, 0x3f4f1bbd, v21
	v_add_f32_e32 v2, v2, v10
	v_mul_f32_e32 v64, 0x3f167918, v64
	v_mul_f32_e32 v58, 0x3f167918, v58
	v_fma_f32 v59, v21, s9, -v12
	v_add_f32_e32 v32, v32, v16
	v_sub_f32_e32 v16, v60, v62
	v_add_f32_e32 v3, v3, v27
	v_fma_f32 v21, v37, s8, -v7
	v_add_f32_e32 v7, v65, v55
	v_add_f32_e32 v27, v2, v14
	v_add_f32_e32 v2, v34, v18
	v_mul_f32_e32 v17, 0x3e9e377a, v17
	v_mul_f32_e32 v13, 0x3e9e377a, v13
	v_add_f32_e32 v16, v58, v16
	v_sub_f32_e32 v7, v7, v64
	v_add_f32_e32 v2, v2, v22
	v_add_f32_e32 v13, v13, v16
	;; [unrolled: 1-line block ×3, first 2 shown]
	v_mul_f32_e32 v7, 0x3e9e377a, v32
	v_add_f32_e32 v2, v2, v26
	v_mul_f32_e32 v16, 0x3e9e377a, v13
	v_add_f32_e32 v19, v3, v31
	v_fma_f32 v13, v13, s6, -v7
	v_add_f32_e32 v22, v2, v30
	v_add_f32_e32 v9, v9, v4
	v_mul_i32_i24_e32 v4, 10, v46
	v_fma_f32 v36, v32, s7, -v16
	v_sub_f32_e32 v15, v17, v13
	v_add_f32_e32 v1, v20, v1
	v_add_f32_e32 v18, v39, v19
	;; [unrolled: 1-line block ×5, first 2 shown]
	v_lshl_add_u32 v4, v4, 3, 0
	v_sub_f32_e32 v12, v67, v59
	v_sub_f32_e32 v16, v33, v36
	;; [unrolled: 1-line block ×5, first 2 shown]
	v_add_f32_e32 v7, v67, v59
	v_add_f32_e32 v14, v33, v36
	;; [unrolled: 1-line block ×4, first 2 shown]
	ds_write2_b64 v4, v[17:18], v[0:1] offset1:1
	ds_write2_b64 v4, v[9:10], v[13:14] offset0:2 offset1:3
	ds_write2_b64 v4, v[6:7], v[2:3] offset0:4 offset1:5
	;; [unrolled: 1-line block ×4, first 2 shown]
.LBB0_15:
	s_or_b64 exec, exec, s[2:3]
	s_movk_i32 s2, 0xffb8
	v_mad_i32_i24 v31, v42, s2, v51
	s_movk_i32 s2, 0xcd
	v_mul_lo_u16_sdwa v11, v42, s2 dst_sel:DWORD dst_unused:UNUSED_PAD src0_sel:BYTE_0 src1_sel:DWORD
	v_lshrrev_b16_e32 v11, 11, v11
	v_mul_lo_u16_e32 v23, 10, v11
	v_sub_u16_e32 v23, v42, v23
	v_mov_b32_e32 v26, 15
	v_mul_u32_u24_sdwa v26, v23, v26 dst_sel:DWORD dst_unused:UNUSED_PAD src0_sel:BYTE_0 src1_sel:DWORD
	v_lshl_add_u32 v38, v46, 3, 0
	v_add_u32_e32 v0, 0x400, v31
	v_add_u32_e32 v5, 0x800, v31
	;; [unrolled: 1-line block ×3, first 2 shown]
	v_lshlrev_b32_e32 v26, 3, v26
	s_waitcnt lgkmcnt(0)
	s_barrier
	ds_read_b64 v[9:10], v48
	ds_read_b64 v[21:22], v38
	ds_read2_b64 v[1:4], v0 offset0:52 offset1:142
	ds_read2_b64 v[5:8], v5 offset0:104 offset1:194
	;; [unrolled: 1-line block ×7, first 2 shown]
	global_load_dwordx4 v[60:63], v26, s[12:13] offset:48
	global_load_dwordx4 v[64:67], v26, s[12:13] offset:32
	;; [unrolled: 1-line block ×3, first 2 shown]
	global_load_dwordx4 v[72:75], v26, s[12:13]
	v_mul_u32_u24_e32 v11, 0xa0, v11
	v_or_b32_sdwa v11, v11, v23 dst_sel:DWORD dst_unused:UNUSED_PAD src0_sel:DWORD src1_sel:BYTE_0
	v_lshl_add_u32 v11, v11, 3, 0
	v_mul_i32_i24_e32 v30, 0xffffffb8, v42
	v_cmp_gt_u32_e32 vcc, 30, v42
	s_waitcnt vmcnt(1) lgkmcnt(6)
	v_mul_f32_e32 v39, v69, v3
	s_waitcnt vmcnt(0)
	v_mul_f32_e32 v27, v73, v22
	v_fma_f32 v27, v72, v21, -v27
	v_mul_f32_e32 v21, v73, v21
	v_fmac_f32_e32 v21, v72, v22
	v_mul_f32_e32 v22, v75, v2
	v_fma_f32 v22, v74, v1, -v22
	v_mul_f32_e32 v36, v75, v1
	v_mul_f32_e32 v1, v69, v4
	v_fma_f32 v37, v68, v3, -v1
	s_waitcnt lgkmcnt(5)
	v_mul_f32_e32 v1, v71, v6
	v_fmac_f32_e32 v39, v68, v4
	v_fma_f32 v68, v70, v5, -v1
	v_mul_f32_e32 v69, v71, v5
	v_mul_f32_e32 v1, v8, v65
	v_fmac_f32_e32 v69, v70, v6
	v_fma_f32 v70, v7, v64, -v1
	v_mul_f32_e32 v65, v7, v65
	s_waitcnt lgkmcnt(4)
	v_mul_f32_e32 v1, v14, v67
	v_fmac_f32_e32 v65, v8, v64
	v_fma_f32 v64, v13, v66, -v1
	v_mul_f32_e32 v67, v13, v67
	v_mul_f32_e32 v1, v16, v61
	v_fmac_f32_e32 v67, v14, v66
	v_fma_f32 v66, v15, v60, -v1
	v_mul_f32_e32 v61, v15, v61
	s_waitcnt lgkmcnt(3)
	v_mul_f32_e32 v1, v18, v63
	v_mul_f32_e32 v63, v17, v63
	v_fmac_f32_e32 v36, v74, v2
	v_fmac_f32_e32 v61, v16, v60
	v_fma_f32 v60, v17, v62, -v1
	v_fmac_f32_e32 v63, v18, v62
	global_load_dwordx2 v[17:18], v26, s[12:13] offset:112
	global_load_dwordx4 v[1:4], v26, s[12:13] offset:96
	global_load_dwordx4 v[5:8], v26, s[12:13] offset:80
	;; [unrolled: 1-line block ×3, first 2 shown]
	s_waitcnt vmcnt(0) lgkmcnt(0)
	s_barrier
	v_mul_f32_e32 v26, v20, v14
	v_mul_f32_e32 v14, v19, v14
	v_fma_f32 v26, v19, v13, -v26
	v_fmac_f32_e32 v14, v20, v13
	v_mul_f32_e32 v13, v33, v16
	v_mul_f32_e32 v16, v32, v16
	v_fma_f32 v13, v32, v15, -v13
	v_fmac_f32_e32 v16, v33, v15
	;; [unrolled: 4-line block ×6, first 2 shown]
	v_mul_f32_e32 v3, v59, v18
	v_fma_f32 v3, v58, v17, -v3
	v_mul_f32_e32 v18, v58, v18
	v_sub_f32_e32 v16, v36, v16
	v_sub_f32_e32 v26, v27, v26
	;; [unrolled: 1-line block ×5, first 2 shown]
	v_fmac_f32_e32 v18, v59, v17
	v_sub_f32_e32 v17, v9, v60
	v_sub_f32_e32 v19, v10, v63
	;; [unrolled: 1-line block ×4, first 2 shown]
	v_fma_f32 v33, v36, 2.0, -v16
	v_sub_f32_e32 v1, v64, v1
	v_fma_f32 v27, v27, 2.0, -v26
	v_fma_f32 v36, v70, 2.0, -v7
	;; [unrolled: 1-line block ×5, first 2 shown]
	v_sub_f32_e32 v5, v68, v5
	v_fma_f32 v32, v69, 2.0, -v8
	v_fma_f32 v22, v22, 2.0, -v13
	v_sub_f32_e32 v4, v67, v4
	v_fma_f32 v34, v64, 2.0, -v1
	v_sub_f32_e32 v2, v65, v2
	v_sub_f32_e32 v8, v17, v8
	;; [unrolled: 1-line block ×4, first 2 shown]
	v_fma_f32 v20, v68, 2.0, -v5
	v_fma_f32 v35, v67, 2.0, -v4
	;; [unrolled: 1-line block ×3, first 2 shown]
	v_sub_f32_e32 v18, v61, v18
	v_sub_f32_e32 v32, v10, v32
	v_add_f32_e32 v5, v19, v5
	v_sub_f32_e32 v34, v22, v34
	v_sub_f32_e32 v4, v13, v4
	v_fma_f32 v27, v27, 2.0, -v36
	v_sub_f32_e32 v2, v26, v2
	v_fma_f32 v37, v37, 2.0, -v53
	v_mov_b32_e32 v59, v8
	v_fma_f32 v9, v9, 2.0, -v17
	v_sub_f32_e32 v6, v39, v6
	v_fma_f32 v54, v61, 2.0, -v18
	v_fma_f32 v17, v17, 2.0, -v8
	v_fma_f32 v22, v22, 2.0, -v34
	v_add_f32_e32 v1, v16, v1
	v_fma_f32 v26, v26, 2.0, -v2
	v_sub_f32_e32 v18, v15, v18
	v_add_f32_e32 v58, v32, v34
	v_fmac_f32_e32 v59, 0x3f3504f3, v4
	v_mov_b32_e32 v60, v5
	v_sub_f32_e32 v34, v27, v37
	v_sub_f32_e32 v14, v21, v14
	v_fma_f32 v19, v19, 2.0, -v5
	v_fma_f32 v13, v13, 2.0, -v4
	;; [unrolled: 1-line block ×3, first 2 shown]
	v_add_f32_e32 v3, v6, v3
	v_fma_f32 v15, v15, 2.0, -v18
	v_mov_b32_e32 v55, v17
	v_fmac_f32_e32 v60, 0x3f3504f3, v1
	v_fmac_f32_e32 v59, 0xbf3504f3, v1
	v_fma_f32 v1, v27, 2.0, -v34
	v_mov_b32_e32 v27, v26
	v_fma_f32 v21, v21, 2.0, -v14
	v_fma_f32 v39, v39, 2.0, -v6
	v_sub_f32_e32 v20, v9, v20
	v_sub_f32_e32 v35, v33, v35
	v_add_f32_e32 v7, v14, v7
	v_fma_f32 v6, v6, 2.0, -v3
	v_fmac_f32_e32 v55, 0xbf3504f3, v13
	v_mov_b32_e32 v56, v19
	v_fmac_f32_e32 v27, 0xbf3504f3, v15
	v_sub_f32_e32 v52, v21, v52
	v_fma_f32 v14, v14, 2.0, -v7
	v_sub_f32_e32 v54, v39, v54
	v_fmac_f32_e32 v56, 0xbf3504f3, v16
	v_fmac_f32_e32 v55, 0xbf3504f3, v16
	v_sub_f32_e32 v57, v20, v35
	v_fmac_f32_e32 v27, 0xbf3504f3, v6
	v_fma_f32 v9, v9, 2.0, -v20
	v_fma_f32 v10, v10, 2.0, -v32
	;; [unrolled: 1-line block ×5, first 2 shown]
	v_fmac_f32_e32 v56, 0x3f3504f3, v13
	v_fma_f32 v13, v17, 2.0, -v55
	v_fma_f32 v17, v20, 2.0, -v57
	;; [unrolled: 1-line block ×3, first 2 shown]
	v_mov_b32_e32 v37, v14
	v_fma_f32 v8, v26, 2.0, -v27
	v_sub_f32_e32 v26, v36, v54
	v_mov_b32_e32 v54, v2
	v_sub_f32_e32 v33, v10, v33
	v_sub_f32_e32 v35, v21, v39
	v_fmac_f32_e32 v37, 0xbf3504f3, v6
	v_fmac_f32_e32 v54, 0x3f3504f3, v18
	v_mov_b32_e32 v61, v7
	v_sub_f32_e32 v22, v9, v22
	v_fma_f32 v10, v10, 2.0, -v33
	v_fma_f32 v16, v19, 2.0, -v56
	v_fmac_f32_e32 v60, 0x3f3504f3, v4
	v_fma_f32 v4, v21, 2.0, -v35
	v_fmac_f32_e32 v37, 0x3f3504f3, v15
	v_fmac_f32_e32 v61, 0x3f3504f3, v3
	;; [unrolled: 1-line block ×3, first 2 shown]
	v_fma_f32 v9, v9, 2.0, -v22
	v_fma_f32 v19, v32, 2.0, -v58
	;; [unrolled: 1-line block ×3, first 2 shown]
	v_add_f32_e32 v39, v52, v53
	v_fmac_f32_e32 v61, 0x3f3504f3, v18
	v_fma_f32 v18, v2, 2.0, -v54
	v_sub_f32_e32 v2, v10, v4
	v_mov_b32_e32 v6, v16
	v_fma_f32 v21, v52, 2.0, -v39
	v_sub_f32_e32 v1, v9, v1
	v_fma_f32 v4, v10, 2.0, -v2
	v_fmac_f32_e32 v6, 0xbf6c835e, v14
	v_mov_b32_e32 v10, v19
	v_fma_f32 v32, v5, 2.0, -v60
	v_fma_f32 v15, v36, 2.0, -v26
	;; [unrolled: 1-line block ×3, first 2 shown]
	v_mov_b32_e32 v5, v13
	v_fmac_f32_e32 v6, 0x3ec3ef15, v8
	v_mov_b32_e32 v9, v17
	v_fmac_f32_e32 v10, 0xbf3504f3, v21
	v_fma_f32 v36, v7, 2.0, -v61
	v_fmac_f32_e32 v5, 0xbf6c835e, v8
	v_fma_f32 v8, v16, 2.0, -v6
	v_fmac_f32_e32 v9, 0xbf3504f3, v15
	v_fmac_f32_e32 v10, 0x3f3504f3, v15
	v_mov_b32_e32 v15, v20
	v_mov_b32_e32 v16, v32
	v_fmac_f32_e32 v15, 0xbec3ef15, v18
	v_fmac_f32_e32 v16, 0xbec3ef15, v36
	;; [unrolled: 1-line block ×6, first 2 shown]
	v_fma_f32 v7, v13, 2.0, -v5
	v_fma_f32 v13, v17, 2.0, -v9
	;; [unrolled: 1-line block ×5, first 2 shown]
	v_sub_f32_e32 v19, v22, v35
	v_add_f32_e32 v20, v33, v34
	v_mov_b32_e32 v32, v55
	v_fma_f32 v21, v22, 2.0, -v19
	v_fma_f32 v22, v33, 2.0, -v20
	v_fmac_f32_e32 v32, 0x3ec3ef15, v27
	v_mov_b32_e32 v33, v56
	v_fmac_f32_e32 v33, 0x3ec3ef15, v37
	v_fmac_f32_e32 v32, 0xbf6c835e, v37
	v_mov_b32_e32 v37, v58
	v_mov_b32_e32 v36, v57
	v_fmac_f32_e32 v37, 0x3f3504f3, v39
	v_fmac_f32_e32 v33, 0x3f6c835e, v27
	;; [unrolled: 1-line block ×4, first 2 shown]
	v_mov_b32_e32 v26, v59
	v_mov_b32_e32 v27, v60
	v_fmac_f32_e32 v26, 0x3f6c835e, v54
	v_fmac_f32_e32 v27, 0x3f6c835e, v61
	v_fma_f32 v34, v55, 2.0, -v32
	v_fma_f32 v35, v56, 2.0, -v33
	v_fmac_f32_e32 v36, 0xbf3504f3, v39
	v_fmac_f32_e32 v26, 0xbec3ef15, v61
	;; [unrolled: 1-line block ×3, first 2 shown]
	v_fma_f32 v52, v57, 2.0, -v36
	v_fma_f32 v53, v58, 2.0, -v37
	;; [unrolled: 1-line block ×4, first 2 shown]
	ds_write2_b64 v11, v[3:4], v[7:8] offset1:10
	ds_write2_b64 v11, v[13:14], v[17:18] offset0:20 offset1:30
	ds_write2_b64 v11, v[21:22], v[34:35] offset0:40 offset1:50
	ds_write2_b64 v11, v[52:53], v[54:55] offset0:60 offset1:70
	ds_write2_b64 v11, v[1:2], v[5:6] offset0:80 offset1:90
	ds_write2_b64 v11, v[9:10], v[15:16] offset0:100 offset1:110
	ds_write2_b64 v11, v[19:20], v[32:33] offset0:120 offset1:130
	ds_write2_b64 v11, v[36:37], v[26:27] offset0:140 offset1:150
	s_waitcnt lgkmcnt(0)
	s_barrier
	ds_read_b64 v[36:37], v48
	ds_read2_b64 v[8:11], v50 offset0:96 offset1:186
	ds_read2_b64 v[4:7], v47 offset0:72 offset1:192
	ds_read_b64 v[34:35], v38
	ds_read2_b64 v[16:19], v49 offset0:26 offset1:116
	ds_read2_b64 v[0:3], v0 offset0:52 offset1:142
	;; [unrolled: 1-line block ×4, first 2 shown]
	ds_read_b64 v[32:33], v31 offset:2880
	v_add_u32_e32 v39, v51, v30
	s_and_saveexec_b64 s[2:3], vcc
	s_cbranch_execz .LBB0_17
; %bb.16:
	ds_read_b64 v[24:25], v48 offset:7440
	ds_read_b64 v[26:27], v39 offset:3600
	;; [unrolled: 1-line block ×3, first 2 shown]
.LBB0_17:
	s_or_b64 exec, exec, s[2:3]
	v_lshlrev_b32_e32 v49, 1, v42
	v_mov_b32_e32 v50, 0
	v_lshlrev_b64 v[30:31], 3, v[49:50]
	v_mov_b32_e32 v43, s13
	v_add_co_u32_e64 v30, s[2:3], s12, v30
	v_addc_co_u32_e64 v31, s[2:3], v43, v31, s[2:3]
	s_movk_i32 s2, 0x46
	v_add_u32_e32 v55, 0xffffffba, v42
	v_cmp_gt_u32_e64 s[2:3], s2, v42
	v_add_u32_e32 v49, 40, v49
	v_cndmask_b32_e64 v75, v55, v46, s[2:3]
	v_mov_b32_e32 v56, v50
	v_lshlrev_b64 v[49:50], 3, v[49:50]
	v_lshlrev_b32_e32 v55, 1, v75
	v_lshlrev_b64 v[59:60], 3, v[55:56]
	v_add_co_u32_e64 v49, s[2:3], s12, v49
	v_addc_co_u32_e64 v50, s[2:3], v43, v50, s[2:3]
	global_load_dwordx4 v[55:58], v[49:50], off offset:1200
	v_add_co_u32_e64 v49, s[2:3], s12, v59
	v_addc_co_u32_e64 v50, s[2:3], v43, v60, s[2:3]
	v_add_u32_e32 v47, 0x10e, v42
	s_mov_b32 s2, 0xcccd
	v_mul_u32_u24_sdwa v43, v47, s2 dst_sel:DWORD dst_unused:UNUSED_PAD src0_sel:WORD_0 src1_sel:DWORD
	v_lshrrev_b32_e32 v76, 23, v43
	v_mul_lo_u16_e32 v43, 0xa0, v76
	v_sub_u16_e32 v77, v47, v43
	global_load_dwordx4 v[59:62], v[49:50], off offset:1200
	v_add_u32_e32 v49, 0x168, v42
	v_lshlrev_b32_e32 v43, 4, v77
	global_load_dwordx4 v[51:54], v[30:31], off offset:1200
	global_load_dwordx4 v[63:66], v43, s[12:13] offset:1200
	v_mul_u32_u24_sdwa v43, v49, s2 dst_sel:DWORD dst_unused:UNUSED_PAD src0_sel:WORD_0 src1_sel:DWORD
	v_lshrrev_b32_e32 v43, 23, v43
	v_mul_lo_u16_e32 v43, 0xa0, v43
	v_sub_u16_e32 v78, v49, v43
	v_lshlrev_b32_e32 v43, 4, v78
	global_load_dwordx4 v[67:70], v43, s[12:13] offset:1200
	v_add_u32_e32 v43, 0x1c2, v42
	v_mul_u32_u24_sdwa v50, v43, s2 dst_sel:DWORD dst_unused:UNUSED_PAD src0_sel:WORD_0 src1_sel:DWORD
	v_lshrrev_b32_e32 v50, 23, v50
	v_mul_lo_u16_e32 v50, 0xa0, v50
	v_sub_u16_e32 v50, v43, v50
	v_lshlrev_b32_e32 v71, 4, v50
	global_load_dwordx4 v[71:74], v71, s[12:13] offset:1200
	s_movk_i32 s2, 0x45
	s_waitcnt vmcnt(0) lgkmcnt(0)
	s_barrier
	v_cmp_lt_u32_e64 s[2:3], s2, v42
	v_mul_f32_e32 v79, v52, v9
	v_mul_f32_e32 v52, v52, v8
	;; [unrolled: 1-line block ×4, first 2 shown]
	v_fmac_f32_e32 v52, v51, v9
	v_fma_f32 v9, v53, v6, -v80
	v_fmac_f32_e32 v54, v53, v7
	v_mul_f32_e32 v53, v58, v18
	v_mul_f32_e32 v7, v58, v19
	v_fmac_f32_e32 v53, v57, v19
	v_mul_f32_e32 v19, v60, v10
	v_fma_f32 v8, v51, v8, -v79
	v_mul_f32_e32 v6, v56, v21
	v_mul_f32_e32 v51, v56, v20
	;; [unrolled: 1-line block ×3, first 2 shown]
	v_fmac_f32_e32 v19, v59, v11
	v_mul_f32_e32 v11, v5, v68
	v_fma_f32 v20, v55, v20, -v6
	v_fmac_f32_e32 v51, v55, v21
	v_fma_f32 v55, v59, v10, -v56
	v_mul_f32_e32 v58, v4, v68
	v_fma_f32 v59, v4, v67, -v11
	v_mul_f32_e32 v4, v25, v72
	v_mul_f32_e32 v6, v62, v17
	;; [unrolled: 1-line block ×3, first 2 shown]
	v_fmac_f32_e32 v58, v5, v67
	v_fma_f32 v62, v24, v71, -v4
	v_mul_f32_e32 v4, v29, v74
	v_add_f32_e32 v5, v8, v9
	v_fma_f32 v18, v57, v18, -v7
	v_mul_f32_e32 v7, v64, v23
	v_mul_f32_e32 v56, v64, v22
	v_fma_f32 v16, v61, v16, -v6
	v_mul_f32_e32 v6, v15, v70
	v_fma_f32 v64, v28, v73, -v4
	v_add_f32_e32 v4, v36, v8
	v_fma_f32 v36, -0.5, v5, v36
	v_fma_f32 v22, v63, v22, -v7
	v_fma_f32 v60, v14, v69, -v6
	v_sub_f32_e32 v5, v52, v54
	v_mov_b32_e32 v6, v36
	v_add_f32_e32 v7, v52, v54
	v_fmac_f32_e32 v6, 0x3f5db3d7, v5
	v_fmac_f32_e32 v36, 0xbf5db3d7, v5
	v_add_f32_e32 v5, v37, v52
	v_fmac_f32_e32 v37, -0.5, v7
	v_add_f32_e32 v4, v4, v9
	v_sub_f32_e32 v8, v8, v9
	v_mov_b32_e32 v7, v37
	v_add_f32_e32 v9, v55, v16
	v_mul_f32_e32 v10, v13, v66
	v_fmac_f32_e32 v21, v61, v17
	v_fmac_f32_e32 v7, 0xbf5db3d7, v8
	;; [unrolled: 1-line block ×3, first 2 shown]
	v_add_f32_e32 v8, v34, v55
	v_fma_f32 v34, -0.5, v9, v34
	v_fmac_f32_e32 v56, v63, v23
	v_fma_f32 v23, v12, v65, -v10
	v_sub_f32_e32 v9, v19, v21
	v_mov_b32_e32 v10, v34
	v_add_f32_e32 v11, v19, v21
	v_mul_f32_e32 v57, v12, v66
	v_fmac_f32_e32 v10, 0x3f5db3d7, v9
	v_fmac_f32_e32 v34, 0xbf5db3d7, v9
	v_add_f32_e32 v9, v35, v19
	v_fmac_f32_e32 v35, -0.5, v11
	v_fmac_f32_e32 v57, v13, v65
	v_sub_f32_e32 v12, v55, v16
	v_mov_b32_e32 v11, v35
	v_add_f32_e32 v13, v20, v18
	v_mul_f32_e32 v61, v14, v70
	v_fmac_f32_e32 v11, 0xbf5db3d7, v12
	v_fmac_f32_e32 v35, 0x3f5db3d7, v12
	v_add_f32_e32 v12, v0, v20
	v_fma_f32 v0, -0.5, v13, v0
	v_fmac_f32_e32 v61, v15, v69
	v_sub_f32_e32 v13, v51, v53
	v_mov_b32_e32 v14, v0
	v_add_f32_e32 v15, v51, v53
	v_fmac_f32_e32 v14, 0x3f5db3d7, v13
	v_fmac_f32_e32 v0, 0xbf5db3d7, v13
	v_add_f32_e32 v13, v1, v51
	v_fma_f32 v1, -0.5, v15, v1
	v_add_f32_e32 v8, v8, v16
	v_sub_f32_e32 v16, v20, v18
	v_mov_b32_e32 v15, v1
	v_add_f32_e32 v17, v22, v23
	v_fmac_f32_e32 v15, 0xbf5db3d7, v16
	v_fmac_f32_e32 v1, 0x3f5db3d7, v16
	v_add_f32_e32 v16, v2, v22
	v_fma_f32 v2, -0.5, v17, v2
	v_add_f32_e32 v12, v12, v18
	v_sub_f32_e32 v17, v56, v57
	v_mov_b32_e32 v18, v2
	v_add_f32_e32 v19, v56, v57
	v_fmac_f32_e32 v18, 0x3f5db3d7, v17
	v_fmac_f32_e32 v2, 0xbf5db3d7, v17
	v_add_f32_e32 v17, v3, v56
	v_fmac_f32_e32 v3, -0.5, v19
	v_add_f32_e32 v9, v9, v21
	v_sub_f32_e32 v20, v22, v23
	v_mov_b32_e32 v19, v3
	v_add_f32_e32 v21, v59, v60
	v_add_f32_e32 v5, v5, v54
	v_fmac_f32_e32 v19, 0xbf5db3d7, v20
	v_fmac_f32_e32 v3, 0x3f5db3d7, v20
	v_add_f32_e32 v20, v32, v59
	v_fma_f32 v32, -0.5, v21, v32
	v_add_f32_e32 v16, v16, v23
	v_sub_f32_e32 v21, v58, v61
	v_mov_b32_e32 v22, v32
	v_add_f32_e32 v23, v58, v61
	ds_write2_b64 v48, v[4:5], v[6:7] offset1:160
	ds_write_b64 v48, v[36:37] offset:2560
	v_mov_b32_e32 v4, 0xf00
	v_mul_f32_e32 v63, v24, v72
	v_fmac_f32_e32 v22, 0x3f5db3d7, v21
	v_fmac_f32_e32 v32, 0xbf5db3d7, v21
	v_add_f32_e32 v21, v33, v58
	v_fmac_f32_e32 v33, -0.5, v23
	v_cndmask_b32_e64 v4, 0, v4, s[2:3]
	v_lshlrev_b32_e32 v5, 3, v75
	v_fmac_f32_e32 v63, v25, v71
	v_mul_f32_e32 v65, v28, v74
	v_sub_f32_e32 v24, v59, v60
	v_mov_b32_e32 v23, v33
	v_add_f32_e32 v25, v62, v64
	v_add3_u32 v4, 0, v4, v5
	v_fmac_f32_e32 v65, v29, v73
	v_add_f32_e32 v13, v13, v53
	v_fmac_f32_e32 v23, 0xbf5db3d7, v24
	v_fmac_f32_e32 v33, 0x3f5db3d7, v24
	v_add_f32_e32 v24, v26, v62
	v_fmac_f32_e32 v26, -0.5, v25
	ds_write2_b64 v4, v[8:9], v[10:11] offset1:160
	ds_write_b64 v4, v[34:35] offset:2560
	v_add_u32_e32 v4, 0xe00, v48
	v_sub_f32_e32 v25, v63, v65
	v_mov_b32_e32 v28, v26
	v_add_f32_e32 v29, v63, v65
	ds_write2_b64 v4, v[12:13], v[14:15] offset0:52 offset1:212
	ds_write_b64 v48, v[0:1] offset:6560
	v_mul_u32_u24_e32 v0, 0xf00, v76
	v_lshlrev_b32_e32 v1, 3, v77
	v_add_f32_e32 v17, v17, v57
	v_fmac_f32_e32 v28, 0x3f5db3d7, v25
	v_fmac_f32_e32 v26, 0xbf5db3d7, v25
	v_add_f32_e32 v25, v27, v63
	v_fmac_f32_e32 v27, -0.5, v29
	v_add3_u32 v0, 0, v0, v1
	v_sub_f32_e32 v51, v62, v64
	v_mov_b32_e32 v29, v27
	ds_write2_b64 v0, v[16:17], v[18:19] offset1:160
	ds_write_b64 v0, v[2:3] offset:2560
	v_lshl_add_u32 v0, v78, 3, 0
	v_add_f32_e32 v20, v20, v60
	v_add_f32_e32 v21, v21, v61
	;; [unrolled: 1-line block ×4, first 2 shown]
	v_fmac_f32_e32 v29, 0xbf5db3d7, v51
	v_fmac_f32_e32 v27, 0x3f5db3d7, v51
	v_add_u32_e32 v1, 0x1c00, v0
	ds_write2_b64 v1, v[20:21], v[22:23] offset0:64 offset1:224
	ds_write_b64 v0, v[32:33] offset:10240
	s_and_saveexec_b64 s[2:3], vcc
	s_cbranch_execz .LBB0_19
; %bb.18:
	v_lshl_add_u32 v0, v50, 3, 0
	v_add_u32_e32 v1, 0x1c00, v0
	ds_write2_b64 v1, v[24:25], v[28:29] offset0:64 offset1:224
	ds_write_b64 v0, v[26:27] offset:10240
.LBB0_19:
	s_or_b64 exec, exec, s[2:3]
	v_add_u32_e32 v0, 0xc00, v48
	s_waitcnt lgkmcnt(0)
	s_barrier
	ds_read2_b64 v[20:23], v0 offset0:96 offset1:186
	v_add_u32_e32 v0, 0x1800, v48
	v_add_u32_e32 v8, 0x1000, v48
	ds_read2_b64 v[4:7], v0 offset0:72 offset1:192
	v_add_u32_e32 v0, 0x2000, v48
	v_add_u32_e32 v50, 0x400, v39
	ds_read2_b64 v[16:19], v8 offset0:148 offset1:238
	v_add_u32_e32 v8, 0x2400, v48
	ds_read2_b64 v[12:15], v0 offset0:26 offset1:116
	ds_read2_b64 v[0:3], v50 offset0:52 offset1:142
	;; [unrolled: 1-line block ×3, first 2 shown]
	ds_read_b64 v[36:37], v48
	ds_read_b64 v[34:35], v38
	ds_read_b64 v[32:33], v39 offset:2880
	s_and_saveexec_b64 s[2:3], vcc
	s_cbranch_execz .LBB0_21
; %bb.20:
	ds_read_b64 v[28:29], v48 offset:7440
	ds_read_b64 v[24:25], v39 offset:3600
	;; [unrolled: 1-line block ×3, first 2 shown]
.LBB0_21:
	s_or_b64 exec, exec, s[2:3]
	global_load_dwordx4 v[51:54], v[30:31], off offset:3760
	v_lshlrev_b32_e32 v30, 1, v46
	v_mov_b32_e32 v31, 0
	v_lshlrev_b64 v[55:56], 3, v[30:31]
	v_mov_b32_e32 v30, 0x168
	v_lshl_add_u32 v30, v42, 1, v30
	v_mov_b32_e32 v69, s13
	v_add_co_u32_e64 v55, s[2:3], s12, v55
	v_lshlrev_b64 v[59:60], 3, v[30:31]
	v_addc_co_u32_e64 v56, s[2:3], v69, v56, s[2:3]
	v_lshlrev_b32_e32 v30, 1, v47
	v_add_co_u32_e64 v59, s[2:3], s12, v59
	v_lshlrev_b64 v[63:64], 3, v[30:31]
	v_addc_co_u32_e64 v60, s[2:3], v69, v60, s[2:3]
	v_lshlrev_b32_e32 v30, 1, v49
	v_add_co_u32_e64 v63, s[2:3], s12, v63
	v_lshlrev_b64 v[67:68], 3, v[30:31]
	v_addc_co_u32_e64 v64, s[2:3], v69, v64, s[2:3]
	global_load_dwordx4 v[55:58], v[55:56], off offset:3760
	v_add_co_u32_e64 v67, s[2:3], s12, v67
	global_load_dwordx4 v[59:62], v[59:60], off offset:3760
	v_addc_co_u32_e64 v68, s[2:3], v69, v68, s[2:3]
	global_load_dwordx4 v[63:66], v[63:64], off offset:3760
	s_waitcnt vmcnt(3) lgkmcnt(8)
	v_mul_f32_e32 v30, v52, v21
	global_load_dwordx4 v[67:70], v[67:68], off offset:3760
	v_mul_f32_e32 v47, v52, v20
	s_waitcnt lgkmcnt(7)
	v_mul_f32_e32 v52, v54, v6
	v_mul_f32_e32 v49, v54, v7
	v_fma_f32 v20, v51, v20, -v30
	v_fmac_f32_e32 v47, v51, v21
	v_fmac_f32_e32 v52, v53, v7
	v_fma_f32 v6, v53, v6, -v49
	s_waitcnt lgkmcnt(2)
	v_add_f32_e32 v7, v36, v20
	v_sub_f32_e32 v30, v47, v52
	v_add_f32_e32 v49, v37, v47
	v_add_f32_e32 v47, v47, v52
	;; [unrolled: 1-line block ×3, first 2 shown]
	v_sub_f32_e32 v51, v20, v6
	v_add_f32_e32 v6, v7, v6
	v_add_f32_e32 v7, v49, v52
	v_fmac_f32_e32 v37, -0.5, v47
	v_fma_f32 v36, -0.5, v21, v36
	v_mov_b32_e32 v21, v37
	v_mov_b32_e32 v20, v36
	v_fmac_f32_e32 v37, 0x3f5db3d7, v51
	v_fmac_f32_e32 v21, 0xbf5db3d7, v51
	;; [unrolled: 1-line block ×3, first 2 shown]
	s_waitcnt vmcnt(3)
	v_mul_f32_e32 v49, v56, v22
	v_mul_f32_e32 v53, v58, v12
	;; [unrolled: 1-line block ×4, first 2 shown]
	v_fmac_f32_e32 v49, v55, v23
	v_fmac_f32_e32 v53, v57, v13
	s_waitcnt vmcnt(2)
	v_mul_f32_e32 v13, v60, v17
	v_mul_f32_e32 v23, v60, v16
	v_fma_f32 v22, v55, v22, -v47
	v_fma_f32 v12, v57, v12, -v52
	v_mul_f32_e32 v52, v62, v14
	v_fma_f32 v13, v59, v16, -v13
	v_fmac_f32_e32 v23, v59, v17
	s_waitcnt vmcnt(1)
	v_mul_f32_e32 v17, v64, v18
	v_mul_f32_e32 v16, v9, v66
	v_mul_f32_e32 v47, v62, v15
	v_fmac_f32_e32 v20, 0x3f5db3d7, v30
	v_fmac_f32_e32 v52, v61, v15
	v_mul_f32_e32 v15, v64, v19
	v_mul_f32_e32 v30, v8, v66
	v_fmac_f32_e32 v17, v63, v19
	v_fma_f32 v19, v8, v65, -v16
	v_fma_f32 v14, v61, v14, -v47
	s_waitcnt lgkmcnt(1)
	v_add_f32_e32 v47, v34, v22
	v_fmac_f32_e32 v30, v9, v65
	v_fma_f32 v18, v63, v18, -v15
	v_add_f32_e32 v15, v23, v52
	s_waitcnt vmcnt(0) lgkmcnt(0)
	s_barrier
	v_mul_f32_e32 v51, v4, v68
	v_mul_f32_e32 v8, v5, v68
	v_fmac_f32_e32 v51, v5, v67
	v_add_f32_e32 v5, v22, v12
	v_mul_f32_e32 v9, v11, v70
	v_fma_f32 v34, -0.5, v5, v34
	v_fma_f32 v55, v4, v67, -v8
	v_fma_f32 v56, v10, v69, -v9
	v_sub_f32_e32 v5, v49, v53
	v_mov_b32_e32 v8, v34
	v_add_f32_e32 v9, v49, v53
	v_mul_f32_e32 v54, v10, v70
	v_fmac_f32_e32 v8, 0x3f5db3d7, v5
	v_fmac_f32_e32 v34, 0xbf5db3d7, v5
	v_add_f32_e32 v5, v35, v49
	v_fmac_f32_e32 v35, -0.5, v9
	v_fmac_f32_e32 v54, v11, v69
	v_sub_f32_e32 v10, v22, v12
	v_mov_b32_e32 v9, v35
	v_add_f32_e32 v11, v13, v14
	v_fmac_f32_e32 v9, 0xbf5db3d7, v10
	v_fmac_f32_e32 v35, 0x3f5db3d7, v10
	v_add_f32_e32 v10, v0, v13
	v_fma_f32 v0, -0.5, v11, v0
	v_add_f32_e32 v4, v47, v12
	v_sub_f32_e32 v11, v23, v52
	v_mov_b32_e32 v12, v0
	v_fmac_f32_e32 v12, 0x3f5db3d7, v11
	v_fmac_f32_e32 v0, 0xbf5db3d7, v11
	v_add_f32_e32 v11, v1, v23
	v_fma_f32 v1, -0.5, v15, v1
	v_add_f32_e32 v10, v10, v14
	v_sub_f32_e32 v14, v13, v14
	v_mov_b32_e32 v13, v1
	v_add_f32_e32 v15, v18, v19
	v_fmac_f32_e32 v13, 0xbf5db3d7, v14
	v_fmac_f32_e32 v1, 0x3f5db3d7, v14
	v_add_f32_e32 v14, v2, v18
	v_fma_f32 v2, -0.5, v15, v2
	v_sub_f32_e32 v15, v17, v30
	v_mov_b32_e32 v16, v2
	v_fmac_f32_e32 v16, 0x3f5db3d7, v15
	v_fmac_f32_e32 v2, 0xbf5db3d7, v15
	v_add_f32_e32 v15, v3, v17
	v_add_f32_e32 v17, v17, v30
	v_fmac_f32_e32 v3, -0.5, v17
	v_add_f32_e32 v14, v14, v19
	v_sub_f32_e32 v18, v18, v19
	v_mov_b32_e32 v17, v3
	v_add_f32_e32 v19, v55, v56
	v_fmac_f32_e32 v17, 0xbf5db3d7, v18
	v_fmac_f32_e32 v3, 0x3f5db3d7, v18
	v_add_f32_e32 v18, v32, v55
	v_fma_f32 v32, -0.5, v19, v32
	v_sub_f32_e32 v19, v51, v54
	v_mov_b32_e32 v22, v32
	v_add_f32_e32 v23, v51, v54
	v_add_f32_e32 v5, v5, v53
	;; [unrolled: 1-line block ×4, first 2 shown]
	v_fmac_f32_e32 v22, 0x3f5db3d7, v19
	v_fmac_f32_e32 v32, 0xbf5db3d7, v19
	v_add_f32_e32 v19, v33, v51
	v_fmac_f32_e32 v33, -0.5, v23
	ds_write_b64 v48, v[6:7]
	ds_write_b64 v48, v[20:21] offset:3840
	ds_write_b64 v48, v[36:37] offset:7680
	ds_write_b64 v38, v[4:5]
	ds_write_b64 v38, v[8:9] offset:3840
	ds_write_b64 v38, v[34:35] offset:7680
	ds_write2_b64 v50, v[10:11], v[14:15] offset0:52 offset1:142
	v_add_u32_e32 v4, 0x1000, v39
	v_sub_f32_e32 v30, v55, v56
	v_mov_b32_e32 v23, v33
	ds_write2_b64 v4, v[12:13], v[16:17] offset0:148 offset1:238
	v_add_u32_e32 v4, 0x2000, v39
	v_add_f32_e32 v18, v18, v56
	v_add_f32_e32 v19, v19, v54
	v_fmac_f32_e32 v23, 0xbf5db3d7, v30
	v_fmac_f32_e32 v33, 0x3f5db3d7, v30
	ds_write2_b64 v4, v[0:1], v[2:3] offset0:116 offset1:206
	ds_write_b64 v39, v[18:19] offset:2880
	ds_write_b64 v39, v[22:23] offset:6720
	;; [unrolled: 1-line block ×3, first 2 shown]
	s_and_saveexec_b64 s[2:3], vcc
	s_cbranch_execz .LBB0_23
; %bb.22:
	v_subrev_u32_e32 v0, 30, v42
	v_cndmask_b32_e32 v0, v0, v43, vcc
	v_lshlrev_b32_e32 v30, 1, v0
	v_lshlrev_b64 v[0:1], 3, v[30:31]
	v_mov_b32_e32 v2, s13
	v_add_co_u32_e32 v0, vcc, s12, v0
	v_addc_co_u32_e32 v1, vcc, v2, v1, vcc
	global_load_dwordx4 v[0:3], v[0:1], off offset:3760
	s_waitcnt vmcnt(0)
	v_mul_f32_e32 v4, v29, v1
	v_mul_f32_e32 v5, v27, v3
	;; [unrolled: 1-line block ×4, first 2 shown]
	v_fma_f32 v4, v28, v0, -v4
	v_fma_f32 v5, v26, v2, -v5
	v_fmac_f32_e32 v1, v29, v0
	v_fmac_f32_e32 v3, v27, v2
	v_add_f32_e32 v0, v1, v3
	v_add_f32_e32 v7, v4, v5
	v_sub_f32_e32 v6, v4, v5
	v_add_f32_e32 v2, v25, v1
	v_sub_f32_e32 v8, v1, v3
	v_add_f32_e32 v4, v24, v4
	v_fma_f32 v1, -0.5, v0, v25
	v_fma_f32 v0, -0.5, v7, v24
	v_add_f32_e32 v3, v2, v3
	v_add_f32_e32 v2, v4, v5
	v_mov_b32_e32 v5, v1
	v_fmac_f32_e32 v1, 0xbf5db3d7, v6
	v_mov_b32_e32 v4, v0
	v_fmac_f32_e32 v0, 0x3f5db3d7, v8
	ds_write_b64 v48, v[2:3] offset:3600
	v_fmac_f32_e32 v5, 0x3f5db3d7, v6
	v_fmac_f32_e32 v4, 0xbf5db3d7, v8
	ds_write_b64 v48, v[0:1] offset:7440
	ds_write_b64 v48, v[4:5] offset:11280
.LBB0_23:
	s_or_b64 exec, exec, s[2:3]
	s_waitcnt lgkmcnt(0)
	s_barrier
	ds_read_b64 v[4:5], v48
	s_add_u32 s6, s12, 0x2cb0
	v_lshlrev_b32_e32 v0, 3, v42
	s_addc_u32 s7, s13, 0
	v_sub_u32_e32 v6, 0, v0
	v_cmp_ne_u32_e32 vcc, 0, v42
                                        ; implicit-def: $vgpr0
                                        ; implicit-def: $vgpr7
                                        ; implicit-def: $vgpr8
                                        ; implicit-def: $vgpr2_vgpr3
	s_and_saveexec_b64 s[2:3], vcc
	s_xor_b64 s[2:3], exec, s[2:3]
	s_cbranch_execz .LBB0_25
; %bb.24:
	v_mov_b32_e32 v43, 0
	v_lshlrev_b64 v[0:1], 3, v[42:43]
	v_mov_b32_e32 v2, s7
	v_add_co_u32_e32 v0, vcc, s6, v0
	v_addc_co_u32_e32 v1, vcc, v2, v1, vcc
	global_load_dwordx2 v[0:1], v[0:1], off
	ds_read_b64 v[2:3], v6 offset:11520
	s_waitcnt lgkmcnt(0)
	v_add_f32_e32 v9, v2, v4
	v_sub_f32_e32 v2, v4, v2
	v_add_f32_e32 v7, v3, v5
	v_sub_f32_e32 v3, v5, v3
	v_mul_f32_e32 v2, 0.5, v2
	v_mul_f32_e32 v4, 0.5, v7
	;; [unrolled: 1-line block ×3, first 2 shown]
	s_waitcnt vmcnt(0)
	v_mul_f32_e32 v5, v1, v2
	v_fma_f32 v8, v4, v1, v3
	v_fma_f32 v1, v4, v1, -v3
	v_fma_f32 v7, 0.5, v9, v5
	v_fma_f32 v3, v9, 0.5, -v5
	v_fma_f32 v8, -v0, v2, v8
	v_fma_f32 v1, -v0, v2, v1
	v_fmac_f32_e32 v7, v0, v4
	v_fma_f32 v0, -v0, v4, v3
	v_mov_b32_e32 v2, v42
	v_mov_b32_e32 v3, v43
                                        ; implicit-def: $vgpr4_vgpr5
.LBB0_25:
	s_andn2_saveexec_b64 s[2:3], s[2:3]
	s_cbranch_execz .LBB0_27
; %bb.26:
	v_mov_b32_e32 v8, 0
	ds_read_b32 v1, v8 offset:5764
	v_mov_b32_e32 v2, 0
	s_waitcnt lgkmcnt(1)
	v_add_f32_e32 v7, v4, v5
	v_sub_f32_e32 v0, v4, v5
	v_mov_b32_e32 v3, 0
	s_waitcnt lgkmcnt(0)
	v_xor_b32_e32 v1, 0x80000000, v1
	ds_write_b32 v8, v1 offset:5764
	v_mov_b32_e32 v1, 0
.LBB0_27:
	s_or_b64 exec, exec, s[2:3]
	v_mov_b32_e32 v47, 0
	s_waitcnt lgkmcnt(0)
	v_lshlrev_b64 v[4:5], 3, v[46:47]
	v_mov_b32_e32 v9, s7
	v_add_co_u32_e32 v4, vcc, s6, v4
	v_addc_co_u32_e32 v5, vcc, v9, v5, vcc
	global_load_dwordx2 v[4:5], v[4:5], off
	v_lshlrev_b64 v[2:3], 3, v[2:3]
	s_movk_i32 s2, 0x1000
	v_add_co_u32_e32 v2, vcc, s6, v2
	v_addc_co_u32_e32 v3, vcc, v9, v3, vcc
	global_load_dwordx2 v[9:10], v[2:3], off offset:1440
	global_load_dwordx2 v[11:12], v[2:3], off offset:2160
	ds_write2_b32 v48, v7, v8 offset1:1
	ds_write_b64 v6, v[0:1] offset:11520
	ds_read_b64 v[0:1], v38
	ds_read_b64 v[7:8], v6 offset:10800
	global_load_dwordx2 v[13:14], v[2:3], off offset:2880
	s_waitcnt lgkmcnt(0)
	v_add_f32_e32 v15, v0, v7
	v_sub_f32_e32 v0, v0, v7
	v_add_f32_e32 v16, v1, v8
	v_sub_f32_e32 v1, v1, v8
	v_mul_f32_e32 v0, 0.5, v0
	v_mul_f32_e32 v7, 0.5, v16
	;; [unrolled: 1-line block ×3, first 2 shown]
	s_waitcnt vmcnt(3)
	v_mul_f32_e32 v8, v5, v0
	v_fma_f32 v16, v7, v5, v1
	v_fma_f32 v1, v7, v5, -v1
	v_fma_f32 v5, 0.5, v15, v8
	v_fma_f32 v16, -v4, v0, v16
	v_fma_f32 v8, v15, 0.5, -v8
	v_fmac_f32_e32 v5, v4, v7
	v_fma_f32 v1, -v4, v0, v1
	v_fma_f32 v0, -v4, v7, v8
	ds_write2_b32 v38, v5, v16 offset1:1
	ds_write_b64 v6, v[0:1] offset:10800
	ds_read_b64 v[0:1], v39 offset:1440
	ds_read_b64 v[4:5], v6 offset:10080
	global_load_dwordx2 v[7:8], v[2:3], off offset:3600
	v_add_co_u32_e32 v2, vcc, s2, v2
	v_addc_co_u32_e32 v3, vcc, 0, v3, vcc
	s_waitcnt lgkmcnt(0)
	v_add_f32_e32 v15, v0, v4
	v_add_f32_e32 v16, v1, v5
	v_sub_f32_e32 v0, v0, v4
	v_sub_f32_e32 v1, v1, v5
	v_mul_f32_e32 v4, 0.5, v16
	v_mul_f32_e32 v0, 0.5, v0
	;; [unrolled: 1-line block ×3, first 2 shown]
	s_waitcnt vmcnt(3)
	v_mul_f32_e32 v5, v10, v0
	v_fma_f32 v16, v4, v10, v1
	v_fma_f32 v1, v4, v10, -v1
	v_fma_f32 v10, 0.5, v15, v5
	v_fma_f32 v16, -v9, v0, v16
	v_fma_f32 v5, v15, 0.5, -v5
	v_fma_f32 v0, -v9, v0, v1
	v_fmac_f32_e32 v10, v9, v4
	ds_write_b32 v39, v16 offset:1444
	v_fma_f32 v1, -v9, v4, v5
	ds_write_b32 v6, v0 offset:10084
	ds_write_b32 v39, v10 offset:1440
	;; [unrolled: 1-line block ×3, first 2 shown]
	ds_read_b64 v[0:1], v39 offset:2160
	ds_read_b64 v[4:5], v6 offset:9360
	s_waitcnt lgkmcnt(0)
	v_add_f32_e32 v9, v0, v4
	v_add_f32_e32 v10, v1, v5
	v_sub_f32_e32 v0, v0, v4
	v_sub_f32_e32 v4, v1, v5
	v_mul_f32_e32 v5, 0.5, v10
	v_mul_f32_e32 v10, 0.5, v0
	global_load_dwordx2 v[0:1], v[2:3], off offset:224
	v_mul_f32_e32 v4, 0.5, v4
	s_waitcnt vmcnt(3)
	v_mul_f32_e32 v15, v12, v10
	v_fma_f32 v16, v5, v12, v4
	v_fma_f32 v4, v5, v12, -v4
	v_fma_f32 v12, 0.5, v9, v15
	v_fma_f32 v16, -v11, v10, v16
	v_fma_f32 v9, v9, 0.5, -v15
	v_fma_f32 v4, -v11, v10, v4
	v_fmac_f32_e32 v12, v11, v5
	ds_write_b32 v39, v16 offset:2164
	v_fma_f32 v5, -v11, v5, v9
	ds_write_b32 v6, v4 offset:9364
	ds_write_b32 v39, v12 offset:2160
	;; [unrolled: 1-line block ×3, first 2 shown]
	ds_read_b64 v[4:5], v39 offset:2880
	ds_read_b64 v[9:10], v6 offset:8640
	global_load_dwordx2 v[2:3], v[2:3], off offset:944
	s_waitcnt lgkmcnt(0)
	v_add_f32_e32 v11, v4, v9
	v_add_f32_e32 v12, v5, v10
	v_sub_f32_e32 v4, v4, v9
	v_sub_f32_e32 v5, v5, v10
	v_mul_f32_e32 v9, 0.5, v12
	v_mul_f32_e32 v4, 0.5, v4
	;; [unrolled: 1-line block ×3, first 2 shown]
	s_waitcnt vmcnt(3)
	v_mul_f32_e32 v10, v14, v4
	v_fma_f32 v12, v9, v14, v5
	v_fma_f32 v5, v9, v14, -v5
	v_fma_f32 v14, 0.5, v11, v10
	v_fma_f32 v12, -v13, v4, v12
	v_fma_f32 v10, v11, 0.5, -v10
	v_fma_f32 v4, -v13, v4, v5
	v_fmac_f32_e32 v14, v13, v9
	ds_write_b32 v39, v12 offset:2884
	v_fma_f32 v5, -v13, v9, v10
	ds_write_b32 v6, v4 offset:8644
	ds_write_b32 v39, v14 offset:2880
	;; [unrolled: 1-line block ×3, first 2 shown]
	ds_read_b64 v[4:5], v39 offset:3600
	ds_read_b64 v[9:10], v6 offset:7920
	s_waitcnt lgkmcnt(0)
	v_add_f32_e32 v11, v4, v9
	v_add_f32_e32 v12, v5, v10
	v_sub_f32_e32 v4, v4, v9
	v_sub_f32_e32 v5, v5, v10
	v_mul_f32_e32 v9, 0.5, v12
	v_mul_f32_e32 v4, 0.5, v4
	;; [unrolled: 1-line block ×3, first 2 shown]
	s_waitcnt vmcnt(2)
	v_mul_f32_e32 v10, v8, v4
	v_fma_f32 v12, v9, v8, v5
	v_fma_f32 v5, v9, v8, -v5
	v_fma_f32 v8, 0.5, v11, v10
	v_fma_f32 v12, -v7, v4, v12
	v_fma_f32 v10, v11, 0.5, -v10
	v_fma_f32 v4, -v7, v4, v5
	v_fmac_f32_e32 v8, v7, v9
	ds_write_b32 v39, v12 offset:3604
	v_fma_f32 v9, -v7, v9, v10
	ds_write_b32 v6, v4 offset:7924
	ds_write_b32 v39, v8 offset:3600
	;; [unrolled: 1-line block ×3, first 2 shown]
	ds_read_b64 v[4:5], v48 offset:4320
	ds_read_b64 v[7:8], v6 offset:7200
	s_waitcnt lgkmcnt(0)
	v_add_f32_e32 v9, v4, v7
	v_sub_f32_e32 v4, v4, v7
	v_add_f32_e32 v10, v5, v8
	v_sub_f32_e32 v5, v5, v8
	v_mul_f32_e32 v7, 0.5, v4
	v_mul_f32_e32 v10, 0.5, v10
	;; [unrolled: 1-line block ×3, first 2 shown]
	s_waitcnt vmcnt(1)
	v_mul_f32_e32 v4, v1, v7
	v_fma_f32 v8, 0.5, v9, v4
	v_fma_f32 v11, v10, v1, v5
	v_fma_f32 v1, v10, v1, -v5
	v_fmac_f32_e32 v8, v0, v10
	v_fma_f32 v11, -v0, v7, v11
	v_fma_f32 v4, v9, 0.5, -v4
	v_fma_f32 v5, -v0, v7, v1
	v_add_u32_e32 v7, 0x1000, v48
	v_fma_f32 v4, -v0, v10, v4
	ds_write2_b32 v7, v8, v11 offset0:56 offset1:57
	ds_write_b64 v6, v[4:5] offset:7200
	ds_read_b64 v[0:1], v48 offset:5040
	ds_read_b64 v[4:5], v6 offset:6480
	s_waitcnt lgkmcnt(0)
	v_add_f32_e32 v8, v0, v4
	v_sub_f32_e32 v0, v0, v4
	v_add_f32_e32 v9, v1, v5
	v_sub_f32_e32 v1, v1, v5
	v_mul_f32_e32 v4, 0.5, v0
	v_mul_f32_e32 v9, 0.5, v9
	;; [unrolled: 1-line block ×3, first 2 shown]
	s_waitcnt vmcnt(0)
	v_mul_f32_e32 v0, v3, v4
	v_fma_f32 v5, 0.5, v8, v0
	v_fma_f32 v10, v9, v3, v1
	v_fmac_f32_e32 v5, v2, v9
	v_fma_f32 v10, -v2, v4, v10
	v_fma_f32 v0, v8, 0.5, -v0
	v_fma_f32 v1, v9, v3, -v1
	v_fma_f32 v0, -v2, v9, v0
	v_fma_f32 v1, -v2, v4, v1
	ds_write2_b32 v7, v5, v10 offset0:236 offset1:237
	ds_write_b64 v6, v[0:1] offset:6480
	s_waitcnt lgkmcnt(0)
	s_barrier
	s_and_saveexec_b64 s[2:3], s[0:1]
	s_cbranch_execz .LBB0_30
; %bb.28:
	v_mul_lo_u32 v2, s5, v44
	v_mul_lo_u32 v3, s4, v45
	v_mad_u64_u32 v[0:1], s[0:1], s4, v44, 0
	v_mov_b32_e32 v6, s11
	v_lshl_add_u32 v8, v42, 3, 0
	v_add3_u32 v1, v1, v3, v2
	v_lshlrev_b64 v[0:1], 3, v[0:1]
	v_mov_b32_e32 v43, v47
	v_add_co_u32_e32 v0, vcc, s10, v0
	v_addc_co_u32_e32 v9, vcc, v6, v1, vcc
	v_lshlrev_b64 v[6:7], 3, v[40:41]
	ds_read2_b64 v[2:5], v8 offset1:90
	v_add_co_u32_e32 v1, vcc, v0, v6
	v_addc_co_u32_e32 v0, vcc, v9, v7, vcc
	v_lshlrev_b64 v[6:7], 3, v[42:43]
	v_add_u32_e32 v46, 0x5a, v42
	v_add_co_u32_e32 v6, vcc, v1, v6
	v_addc_co_u32_e32 v7, vcc, v0, v7, vcc
	s_waitcnt lgkmcnt(0)
	global_store_dwordx2 v[6:7], v[2:3], off
	v_lshlrev_b64 v[2:3], 3, v[46:47]
	v_add_u32_e32 v46, 0xb4, v42
	v_add_co_u32_e32 v2, vcc, v1, v2
	v_addc_co_u32_e32 v3, vcc, v0, v3, vcc
	global_store_dwordx2 v[2:3], v[4:5], off
	v_add_u32_e32 v2, 0x400, v8
	ds_read2_b64 v[2:5], v2 offset0:52 offset1:142
	v_lshlrev_b64 v[6:7], 3, v[46:47]
	v_add_u32_e32 v46, 0x10e, v42
	v_add_co_u32_e32 v6, vcc, v1, v6
	v_addc_co_u32_e32 v7, vcc, v0, v7, vcc
	s_waitcnt lgkmcnt(0)
	global_store_dwordx2 v[6:7], v[2:3], off
	v_lshlrev_b64 v[2:3], 3, v[46:47]
	v_add_u32_e32 v46, 0x168, v42
	v_add_co_u32_e32 v2, vcc, v1, v2
	v_addc_co_u32_e32 v3, vcc, v0, v3, vcc
	global_store_dwordx2 v[2:3], v[4:5], off
	v_add_u32_e32 v2, 0x800, v8
	ds_read2_b64 v[2:5], v2 offset0:104 offset1:194
	;; [unrolled: 13-line block ×7, first 2 shown]
	v_lshlrev_b64 v[6:7], 3, v[46:47]
	v_add_u32_e32 v46, 0x546, v42
	v_add_co_u32_e32 v6, vcc, v1, v6
	v_addc_co_u32_e32 v7, vcc, v0, v7, vcc
	s_waitcnt lgkmcnt(0)
	global_store_dwordx2 v[6:7], v[2:3], off
	v_lshlrev_b64 v[2:3], 3, v[46:47]
	s_movk_i32 s0, 0x59
	v_add_co_u32_e32 v2, vcc, v1, v2
	v_addc_co_u32_e32 v3, vcc, v0, v3, vcc
	v_cmp_eq_u32_e32 vcc, s0, v42
	global_store_dwordx2 v[2:3], v[4:5], off
	s_and_b64 exec, exec, vcc
	s_cbranch_execz .LBB0_30
; %bb.29:
	v_mov_b32_e32 v2, 0
	ds_read_b64 v[2:3], v2 offset:11520
	v_add_co_u32_e32 v4, vcc, 0x2000, v1
	v_addc_co_u32_e32 v5, vcc, 0, v0, vcc
	s_waitcnt lgkmcnt(0)
	global_store_dwordx2 v[4:5], v[2:3], off offset:3328
.LBB0_30:
	s_endpgm
	.section	.rodata,"a",@progbits
	.p2align	6, 0x0
	.amdhsa_kernel fft_rtc_fwd_len1440_factors_10_16_3_3_wgs_90_tpt_90_halfLds_sp_op_CI_CI_unitstride_sbrr_R2C_dirReg
		.amdhsa_group_segment_fixed_size 0
		.amdhsa_private_segment_fixed_size 0
		.amdhsa_kernarg_size 104
		.amdhsa_user_sgpr_count 6
		.amdhsa_user_sgpr_private_segment_buffer 1
		.amdhsa_user_sgpr_dispatch_ptr 0
		.amdhsa_user_sgpr_queue_ptr 0
		.amdhsa_user_sgpr_kernarg_segment_ptr 1
		.amdhsa_user_sgpr_dispatch_id 0
		.amdhsa_user_sgpr_flat_scratch_init 0
		.amdhsa_user_sgpr_private_segment_size 0
		.amdhsa_uses_dynamic_stack 0
		.amdhsa_system_sgpr_private_segment_wavefront_offset 0
		.amdhsa_system_sgpr_workgroup_id_x 1
		.amdhsa_system_sgpr_workgroup_id_y 0
		.amdhsa_system_sgpr_workgroup_id_z 0
		.amdhsa_system_sgpr_workgroup_info 0
		.amdhsa_system_vgpr_workitem_id 0
		.amdhsa_next_free_vgpr 81
		.amdhsa_next_free_sgpr 28
		.amdhsa_reserve_vcc 1
		.amdhsa_reserve_flat_scratch 0
		.amdhsa_float_round_mode_32 0
		.amdhsa_float_round_mode_16_64 0
		.amdhsa_float_denorm_mode_32 3
		.amdhsa_float_denorm_mode_16_64 3
		.amdhsa_dx10_clamp 1
		.amdhsa_ieee_mode 1
		.amdhsa_fp16_overflow 0
		.amdhsa_exception_fp_ieee_invalid_op 0
		.amdhsa_exception_fp_denorm_src 0
		.amdhsa_exception_fp_ieee_div_zero 0
		.amdhsa_exception_fp_ieee_overflow 0
		.amdhsa_exception_fp_ieee_underflow 0
		.amdhsa_exception_fp_ieee_inexact 0
		.amdhsa_exception_int_div_zero 0
	.end_amdhsa_kernel
	.text
.Lfunc_end0:
	.size	fft_rtc_fwd_len1440_factors_10_16_3_3_wgs_90_tpt_90_halfLds_sp_op_CI_CI_unitstride_sbrr_R2C_dirReg, .Lfunc_end0-fft_rtc_fwd_len1440_factors_10_16_3_3_wgs_90_tpt_90_halfLds_sp_op_CI_CI_unitstride_sbrr_R2C_dirReg
                                        ; -- End function
	.section	.AMDGPU.csdata,"",@progbits
; Kernel info:
; codeLenInByte = 10512
; NumSgprs: 32
; NumVgprs: 81
; ScratchSize: 0
; MemoryBound: 0
; FloatMode: 240
; IeeeMode: 1
; LDSByteSize: 0 bytes/workgroup (compile time only)
; SGPRBlocks: 3
; VGPRBlocks: 20
; NumSGPRsForWavesPerEU: 32
; NumVGPRsForWavesPerEU: 81
; Occupancy: 3
; WaveLimiterHint : 1
; COMPUTE_PGM_RSRC2:SCRATCH_EN: 0
; COMPUTE_PGM_RSRC2:USER_SGPR: 6
; COMPUTE_PGM_RSRC2:TRAP_HANDLER: 0
; COMPUTE_PGM_RSRC2:TGID_X_EN: 1
; COMPUTE_PGM_RSRC2:TGID_Y_EN: 0
; COMPUTE_PGM_RSRC2:TGID_Z_EN: 0
; COMPUTE_PGM_RSRC2:TIDIG_COMP_CNT: 0
	.type	__hip_cuid_4b203c5334cb434e,@object ; @__hip_cuid_4b203c5334cb434e
	.section	.bss,"aw",@nobits
	.globl	__hip_cuid_4b203c5334cb434e
__hip_cuid_4b203c5334cb434e:
	.byte	0                               ; 0x0
	.size	__hip_cuid_4b203c5334cb434e, 1

	.ident	"AMD clang version 19.0.0git (https://github.com/RadeonOpenCompute/llvm-project roc-6.4.0 25133 c7fe45cf4b819c5991fe208aaa96edf142730f1d)"
	.section	".note.GNU-stack","",@progbits
	.addrsig
	.addrsig_sym __hip_cuid_4b203c5334cb434e
	.amdgpu_metadata
---
amdhsa.kernels:
  - .args:
      - .actual_access:  read_only
        .address_space:  global
        .offset:         0
        .size:           8
        .value_kind:     global_buffer
      - .offset:         8
        .size:           8
        .value_kind:     by_value
      - .actual_access:  read_only
        .address_space:  global
        .offset:         16
        .size:           8
        .value_kind:     global_buffer
      - .actual_access:  read_only
        .address_space:  global
        .offset:         24
        .size:           8
        .value_kind:     global_buffer
      - .actual_access:  read_only
        .address_space:  global
        .offset:         32
        .size:           8
        .value_kind:     global_buffer
      - .offset:         40
        .size:           8
        .value_kind:     by_value
      - .actual_access:  read_only
        .address_space:  global
        .offset:         48
        .size:           8
        .value_kind:     global_buffer
      - .actual_access:  read_only
        .address_space:  global
        .offset:         56
        .size:           8
        .value_kind:     global_buffer
      - .offset:         64
        .size:           4
        .value_kind:     by_value
      - .actual_access:  read_only
        .address_space:  global
        .offset:         72
        .size:           8
        .value_kind:     global_buffer
      - .actual_access:  read_only
        .address_space:  global
        .offset:         80
        .size:           8
        .value_kind:     global_buffer
      - .actual_access:  read_only
        .address_space:  global
        .offset:         88
        .size:           8
        .value_kind:     global_buffer
      - .actual_access:  write_only
        .address_space:  global
        .offset:         96
        .size:           8
        .value_kind:     global_buffer
    .group_segment_fixed_size: 0
    .kernarg_segment_align: 8
    .kernarg_segment_size: 104
    .language:       OpenCL C
    .language_version:
      - 2
      - 0
    .max_flat_workgroup_size: 90
    .name:           fft_rtc_fwd_len1440_factors_10_16_3_3_wgs_90_tpt_90_halfLds_sp_op_CI_CI_unitstride_sbrr_R2C_dirReg
    .private_segment_fixed_size: 0
    .sgpr_count:     32
    .sgpr_spill_count: 0
    .symbol:         fft_rtc_fwd_len1440_factors_10_16_3_3_wgs_90_tpt_90_halfLds_sp_op_CI_CI_unitstride_sbrr_R2C_dirReg.kd
    .uniform_work_group_size: 1
    .uses_dynamic_stack: false
    .vgpr_count:     81
    .vgpr_spill_count: 0
    .wavefront_size: 64
amdhsa.target:   amdgcn-amd-amdhsa--gfx906
amdhsa.version:
  - 1
  - 2
...

	.end_amdgpu_metadata
